;; amdgpu-corpus repo=ROCm/vllm kind=compiled arch=gfx1250 opt=O3
	.amdgcn_target "amdgcn-amd-amdhsa--gfx1250"
	.amdhsa_code_object_version 6
	.text
	.protected	_Z37convert_vertical_slash_indexes_kernelPKiS0_S0_S0_PiS1_S1_S1_llllllb ; -- Begin function _Z37convert_vertical_slash_indexes_kernelPKiS0_S0_S0_PiS1_S1_S1_llllllb
	.globl	_Z37convert_vertical_slash_indexes_kernelPKiS0_S0_S0_PiS1_S1_S1_llllllb
	.p2align	8
	.type	_Z37convert_vertical_slash_indexes_kernelPKiS0_S0_S0_PiS1_S1_S1_llllllb,@function
_Z37convert_vertical_slash_indexes_kernelPKiS0_S0_S0_PiS1_S1_S1_llllllb: ; @_Z37convert_vertical_slash_indexes_kernelPKiS0_S0_S0_PiS1_S1_S1_llllllb
; %bb.0:
	s_load_b32 s2, s[0:1], 0x84
	s_bfe_u32 s3, ttmp6, 0x40014
	s_lshr_b32 s4, ttmp7, 16
	s_add_co_i32 s3, s3, 1
	s_bfe_u32 s6, ttmp6, 0x40010
	s_load_b256 s[20:27], s[0:1], 0x40
	s_mul_i32 s3, s4, s3
	s_bfe_u32 s5, ttmp6, 0x40008
	s_and_b32 s7, ttmp7, 0xffff
	s_add_co_i32 s6, s6, 1
	s_add_co_i32 s5, s5, s3
	s_mul_i32 s3, s7, s6
	s_bfe_u32 s6, ttmp6, 0x40004
	s_getreg_b32 s36, hwreg(HW_REG_IB_STS2, 6, 4)
	s_add_co_i32 s6, s6, s3
	s_cmp_eq_u32 s36, 0
	v_mov_b32_e32 v9, 0
	s_cselect_b32 s34, s7, s6
	s_cselect_b32 s3, s4, s5
	s_load_b512 s[4:19], s[0:1], 0x0
	s_wait_kmcnt 0x0
	s_and_b32 s2, s2, 0xffff
	s_mov_b32 s35, 0
	v_mad_u32 v8, s3, s2, v0
	s_delay_alu instid0(VALU_DEP_1)
	v_mul_u64_e32 v[0:1], s[24:25], v[8:9]
	s_load_b32 s2, s[4:5], s34 offset:0x0 scale_offset
	s_wait_xcnt 0x0
	s_mov_b32 s4, exec_lo
	s_wait_kmcnt 0x0
	s_ashr_i32 s3, s2, 31
	s_delay_alu instid0(VALU_DEP_1) | instid1(SALU_CYCLE_1)
	v_cmpx_gt_i64_e64 s[2:3], v[0:1]
	s_cbranch_execz .LBB0_79
; %bb.1:
	s_load_b32 s5, s[0:1], 0x70
	s_load_b32 s4, s[6:7], s34 offset:0x0 scale_offset
	s_load_b128 s[28:31], s[0:1], 0x60
	s_wait_xcnt 0x0
	s_mul_u64 s[6:7], s[20:21], s[34:35]
	v_add_nc_u64_e32 v[14:15], s[24:25], v[0:1]
	s_wait_kmcnt 0x0
	s_bitcmp1_b32 s5, 0
	s_cselect_b32 s33, -1, 0
	s_bfe_u32 s0, ttmp6, 0x4000c
	s_and_b32 s1, ttmp6, 15
	s_add_co_i32 s0, s0, 1
	s_ashr_i32 s5, s4, 31
	s_mul_i32 s0, ttmp9, s0
	v_add_nc_u64_e32 v[2:3], s[4:5], v[14:15]
	s_add_co_i32 s1, s1, s0
	s_cmp_eq_u32 s36, 0
	s_cselect_b32 s0, ttmp9, s1
	s_and_b32 vcc_lo, exec_lo, s33
	s_ashr_i32 s1, s0, 31
	s_delay_alu instid0(SALU_CYCLE_1) | instskip(NEXT) | instid1(SALU_CYCLE_1)
	s_add_nc_u64 s[20:21], s[6:7], s[0:1]
	s_mul_u64 s[0:1], s[30:31], s[20:21]
	s_mul_u64 s[6:7], s[28:29], s[20:21]
	s_lshl_b64 s[0:1], s[0:1], 2
	s_lshl_b64 s[6:7], s[6:7], 2
	s_add_nc_u64 s[0:1], s[10:11], s[0:1]
	s_add_nc_u64 s[6:7], s[8:9], s[6:7]
	s_load_b32 s34, s[0:1], 0x0
	s_load_b32 s36, s[6:7], 0x0
	v_cmp_gt_i64_e64 s8, s[30:31], 1
	s_mov_b32 s9, -1
	s_wait_kmcnt 0x0
	s_ashr_i32 s35, s34, 31
	s_cbranch_vccnz .LBB0_7
; %bb.2:
	v_cmp_ge_i64_e32 vcc_lo, s[34:35], v[2:3]
	v_mov_b64_e32 v[6:7], 1
	v_mov_b64_e32 v[4:5], s[34:35]
	s_and_b32 s8, vcc_lo, s8
	s_delay_alu instid0(SALU_CYCLE_1)
	s_and_saveexec_b32 s37, s8
	s_cbranch_execz .LBB0_6
; %bb.3:
	s_add_nc_u64 s[8:9], s[0:1], 4
	s_mov_b64 s[10:11], 1
	s_mov_b32 s38, 0
.LBB0_4:                                ; =>This Inner Loop Header: Depth=1
	s_load_b32 s40, s[8:9], 0x0
	s_add_nc_u64 s[10:11], s[10:11], 1
	s_wait_xcnt 0x0
	s_add_nc_u64 s[8:9], s[8:9], 4
	v_cmp_ge_i64_e64 s39, s[10:11], s[30:31]
	v_mov_b64_e32 v[6:7], s[10:11]
	s_wait_kmcnt 0x0
	s_ashr_i32 s41, s40, 31
	s_delay_alu instid0(SALU_CYCLE_1) | instskip(SKIP_2) | instid1(SALU_CYCLE_1)
	v_cmp_lt_i64_e32 vcc_lo, s[40:41], v[2:3]
	v_mov_b64_e32 v[4:5], s[40:41]
	s_or_b32 s39, vcc_lo, s39
	s_and_b32 s39, exec_lo, s39
	s_delay_alu instid0(SALU_CYCLE_1) | instskip(NEXT) | instid1(SALU_CYCLE_1)
	s_or_b32 s38, s39, s38
	s_and_not1_b32 exec_lo, exec_lo, s38
	s_cbranch_execnz .LBB0_4
; %bb.5:
	s_or_b32 exec_lo, exec_lo, s38
.LBB0_6:
	s_delay_alu instid0(SALU_CYCLE_1) | instskip(NEXT) | instid1(VALU_DEP_1)
	s_or_b32 exec_lo, exec_lo, s37
	v_cmp_ge_i64_e64 s8, v[2:3], v[4:5]
	v_sub_nc_u64_e32 v[10:11], v[2:3], v[4:5]
	s_sub_nc_u64 s[10:11], s[4:5], s[2:3]
	s_delay_alu instid0(SALU_CYCLE_1)
	v_add_nc_u64_e32 v[4:5], s[10:11], v[14:15]
	s_branch .LBB0_13
.LBB0_7:
                                        ; implicit-def: $sgpr8
                                        ; implicit-def: $vgpr6_vgpr7
                                        ; implicit-def: $vgpr10_vgpr11
	s_sub_nc_u64 s[10:11], s[4:5], s[2:3]
	s_and_b32 vcc_lo, exec_lo, s9
	v_add_nc_u64_e32 v[4:5], s[10:11], v[14:15]
	s_cbranch_vccz .LBB0_13
; %bb.8:
	v_add_nc_u64_e32 v[10:11], s[10:11], v[14:15]
	v_cmp_gt_i64_e64 s8, s[30:31], 1
	v_mov_b64_e32 v[6:7], 1
	v_mov_b64_e32 v[12:13], s[34:35]
	s_delay_alu instid0(VALU_DEP_4) | instskip(SKIP_1) | instid1(SALU_CYCLE_1)
	v_cmp_ge_i64_e32 vcc_lo, s[34:35], v[10:11]
	s_and_b32 s8, vcc_lo, s8
	s_and_saveexec_b32 s37, s8
	s_cbranch_execz .LBB0_12
; %bb.9:
	s_add_nc_u64 s[8:9], s[0:1], 4
	s_mov_b64 s[34:35], 1
	s_mov_b32 s38, 0
.LBB0_10:                               ; =>This Inner Loop Header: Depth=1
	s_load_b32 s40, s[8:9], 0x0
	s_add_nc_u64 s[34:35], s[34:35], 1
	s_wait_xcnt 0x0
	s_add_nc_u64 s[8:9], s[8:9], 4
	v_cmp_ge_i64_e64 s39, s[34:35], s[30:31]
	v_mov_b64_e32 v[6:7], s[34:35]
	s_wait_kmcnt 0x0
	s_ashr_i32 s41, s40, 31
	s_delay_alu instid0(SALU_CYCLE_1) | instskip(SKIP_2) | instid1(SALU_CYCLE_1)
	v_cmp_lt_i64_e32 vcc_lo, s[40:41], v[10:11]
	v_mov_b64_e32 v[12:13], s[40:41]
	s_or_b32 s39, vcc_lo, s39
	s_and_b32 s39, exec_lo, s39
	s_delay_alu instid0(SALU_CYCLE_1) | instskip(NEXT) | instid1(SALU_CYCLE_1)
	s_or_b32 s38, s39, s38
	s_and_not1_b32 exec_lo, exec_lo, s38
	s_cbranch_execnz .LBB0_10
; %bb.11:
	s_or_b32 exec_lo, exec_lo, s38
.LBB0_12:
	s_delay_alu instid0(SALU_CYCLE_1) | instskip(NEXT) | instid1(VALU_DEP_2)
	s_or_b32 exec_lo, exec_lo, s37
	v_cmp_ge_i64_e64 s8, v[10:11], v[12:13]
	v_sub_nc_u64_e32 v[10:11], v[10:11], v[12:13]
.LBB0_13:
	s_delay_alu instid0(VALU_DEP_1) | instskip(SKIP_2) | instid1(VALU_DEP_3)
	v_max_i64 v[12:13], v[10:11], s[24:25]
	s_xor_b32 s34, s33, -1
	s_mov_b32 s37, -1
	s_xor_b32 s38, s8, -1
	s_add_nc_u64 s[8:9], s[26:27], s[4:5]
	s_delay_alu instid0(VALU_DEP_1)
	v_sub_nc_u64_e64 v[10:11], v[12:13], s[24:25]
	v_mov_b64_e32 v[18:19], v[12:13]
	s_and_saveexec_b32 s35, s38
	s_cbranch_execz .LBB0_18
; %bb.14:
	s_and_b32 vcc_lo, exec_lo, s34
	s_cbranch_vccz .LBB0_16
; %bb.15:
	s_mov_b32 s37, 0
.LBB0_16:
	v_mov_b64_e32 v[18:19], s[8:9]
	v_mov_b64_e32 v[10:11], s[4:5]
	s_and_not1_b32 vcc_lo, exec_lo, s37
	s_cbranch_vccnz .LBB0_18
; %bb.17:
	v_add_nc_u64_e32 v[10:11], s[10:11], v[14:15]
	s_delay_alu instid0(VALU_DEP_1)
	v_add_nc_u64_e32 v[18:19], s[26:27], v[10:11]
.LBB0_18:
	s_or_b32 exec_lo, exec_lo, s35
	v_mad_nc_u64_u32 v[8:9], s20, s22, v[8:9]
	s_mul_i32 s10, s21, s22
	s_mul_i32 s11, s20, s23
	v_add_nc_u64_e32 v[24:25], s[26:27], v[4:5]
	v_mov_b64_e32 v[40:41], 0
	v_mov_b64_e32 v[20:21], 0
	v_dual_mov_b32 v30, s36 :: v_dual_mov_b32 v42, 0
	v_add3_u32 v9, s11, s10, v9
	s_and_b32 s10, exec_lo, s33
	s_cselect_b32 s11, s3, 0
	s_cselect_b32 s10, s2, 0
	s_delay_alu instid0(SALU_CYCLE_1) | instskip(SKIP_3) | instid1(VALU_DEP_3)
	v_sub_nc_u64_e64 v[14:15], v[14:15], s[10:11]
	v_mul_u64_e32 v[16:17], s[28:29], v[8:9]
	v_mul_u64_e32 v[28:29], s[30:31], v[8:9]
	s_mov_b64 s[10:11], 1
	v_add_nc_u64_e32 v[26:27], s[8:9], v[14:15]
	s_delay_alu instid0(VALU_DEP_3) | instskip(NEXT) | instid1(VALU_DEP_3)
	v_lshl_add_u64 v[22:23], v[16:17], 2, s[18:19]
	v_lshl_add_u64 v[16:17], v[28:29], 2, s[14:15]
	s_mov_b32 s19, 0
	s_mov_b32 s18, 0
	s_branch .LBB0_20
.LBB0_19:                               ;   in Loop: Header=BB0_20 Depth=1
	s_or_b32 exec_lo, exec_lo, s21
	v_mov_b64_e32 v[32:33], s[10:11]
	s_and_b32 s20, exec_lo, s20
	s_mov_b64 s[10:11], s[14:15]
	s_or_b32 s18, s20, s18
	s_delay_alu instid0(SALU_CYCLE_1)
	s_and_not1_b32 exec_lo, exec_lo, s18
	s_cbranch_execz .LBB0_70
.LBB0_20:                               ; =>This Loop Header: Depth=1
                                        ;     Child Loop BB0_23 Depth 2
                                        ;       Child Loop BB0_31 Depth 3
                                        ;         Child Loop BB0_41 Depth 4
                                        ;         Child Loop BB0_64 Depth 4
	v_cmp_lt_i64_e64 s14, s[10:11], s[28:29]
	s_wait_loadcnt 0x0
	v_ashrrev_i32_e32 v31, 31, v30
	s_cmp_eq_u64 s[10:11], s[28:29]
	s_mov_b32 s20, 0
	s_cselect_b32 s15, -1, 0
	s_mov_b32 s22, s19
                                        ; implicit-def: $sgpr21
	s_branch .LBB0_23
.LBB0_21:                               ;   in Loop: Header=BB0_23 Depth=2
	s_wait_xcnt 0x0
	s_or_b32 exec_lo, exec_lo, s36
	s_delay_alu instid0(SALU_CYCLE_1)
	s_and_not1_b32 s22, s22, exec_lo
	s_and_b32 s23, s23, exec_lo
	v_mov_b64_e32 v[20:21], v[30:31]
	v_mov_b64_e32 v[6:7], v[38:39]
	;; [unrolled: 1-line block ×5, first 2 shown]
	s_xor_b32 s37, exec_lo, -1
	s_or_b32 s22, s22, s23
	s_or_not1_b32 s36, s14, exec_lo
.LBB0_22:                               ;   in Loop: Header=BB0_23 Depth=2
	s_or_b32 exec_lo, exec_lo, s35
	s_xor_b32 s23, s37, -1
	s_and_b32 s35, exec_lo, s36
	v_mov_b64_e32 v[30:31], v[26:27]
	s_or_b32 s20, s35, s20
	s_and_not1_b32 s19, s19, exec_lo
	s_and_b32 s35, s22, exec_lo
	s_and_not1_b32 s21, s21, exec_lo
	s_and_b32 s23, s23, exec_lo
	s_or_b32 s19, s19, s35
	s_or_b32 s21, s21, s23
	s_and_not1_b32 exec_lo, exec_lo, s20
	s_cbranch_execz .LBB0_68
.LBB0_23:                               ;   Parent Loop BB0_20 Depth=1
                                        ; =>  This Loop Header: Depth=2
                                        ;       Child Loop BB0_31 Depth 3
                                        ;         Child Loop BB0_41 Depth 4
                                        ;         Child Loop BB0_64 Depth 4
	v_mov_b64_e32 v[28:29], v[30:31]
	v_mov_b64_e32 v[14:15], v[40:41]
	;; [unrolled: 1-line block ×7, first 2 shown]
	s_and_not1_b32 s23, s0, exec_lo
	s_and_b32 s35, s22, exec_lo
	s_mov_b32 s36, 0
	s_or_b32 s40, s23, s35
                                        ; implicit-def: $sgpr37
                                        ; implicit-def: $sgpr23
                                        ; implicit-def: $sgpr35
                                        ; implicit-def: $sgpr38
                                        ; implicit-def: $sgpr41
                                        ; implicit-def: $sgpr39
                                        ; implicit-def: $sgpr42
	s_branch .LBB0_31
.LBB0_24:                               ;   in Loop: Header=BB0_31 Depth=3
	s_or_b32 exec_lo, exec_lo, s53
.LBB0_25:                               ;   in Loop: Header=BB0_31 Depth=3
	s_delay_alu instid0(SALU_CYCLE_1)
	s_or_b32 exec_lo, exec_lo, s52
.LBB0_26:                               ;   in Loop: Header=BB0_31 Depth=3
	s_delay_alu instid0(SALU_CYCLE_1)
	s_or_b32 exec_lo, exec_lo, s51
	v_sub_nc_u64_e64 v[32:33], v[36:37], s[24:25]
	v_mov_b64_e32 v[34:35], v[36:37]
.LBB0_27:                               ;   in Loop: Header=BB0_31 Depth=3
	s_or_b32 exec_lo, exec_lo, s50
.LBB0_28:                               ;   in Loop: Header=BB0_31 Depth=3
	s_delay_alu instid0(SALU_CYCLE_1) | instskip(NEXT) | instid1(SALU_CYCLE_1)
	s_or_b32 exec_lo, exec_lo, s49
	s_and_not1_b32 s47, s47, exec_lo
	s_and_b32 s44, s44, exec_lo
	s_and_not1_b32 s46, s46, exec_lo
	s_or_b32 s47, s47, s44
	s_or_b32 s46, s46, s44
	s_xor_b32 s50, exec_lo, -1
.LBB0_29:                               ;   in Loop: Header=BB0_31 Depth=3
	s_or_b32 exec_lo, exec_lo, s48
	s_delay_alu instid0(SALU_CYCLE_1)
	s_and_not1_b32 s42, s42, exec_lo
	s_and_b32 s44, s47, exec_lo
	s_and_not1_b32 s39, s39, exec_lo
	s_and_b32 s45, s45, exec_lo
	s_or_b32 s42, s42, s44
	s_or_b32 s39, s39, s45
	s_and_not1_b32 s41, s41, exec_lo
	s_and_b32 s44, s46, exec_lo
	s_and_not1_b32 s38, s38, exec_lo
	s_and_b32 s45, s50, exec_lo
	s_or_b32 s41, s41, s44
	s_or_b32 s38, s38, s45
.LBB0_30:                               ;   in Loop: Header=BB0_31 Depth=3
	s_or_b32 exec_lo, exec_lo, s43
	s_delay_alu instid0(SALU_CYCLE_1) | instskip(NEXT) | instid1(SALU_CYCLE_1)
	s_and_b32 s43, exec_lo, s38
	s_or_b32 s36, s43, s36
	s_and_not1_b32 s43, s40, exec_lo
	s_and_b32 s44, s42, exec_lo
	s_and_not1_b32 s35, s35, exec_lo
	s_and_b32 s45, s39, exec_lo
	s_or_b32 s43, s43, s44
	s_and_not1_b32 s23, s23, exec_lo
	s_and_b32 s44, s41, exec_lo
	s_and_not1_b32 s37, s37, exec_lo
	s_and_b32 s40, s40, exec_lo
	s_or_b32 s35, s35, s45
	s_or_b32 s23, s23, s44
	;; [unrolled: 1-line block ×3, first 2 shown]
	s_mov_b32 s40, s43
	s_and_not1_b32 exec_lo, exec_lo, s36
	s_cbranch_execz .LBB0_65
.LBB0_31:                               ;   Parent Loop BB0_20 Depth=1
                                        ;     Parent Loop BB0_23 Depth=2
                                        ; =>    This Loop Header: Depth=3
                                        ;         Child Loop BB0_41 Depth 4
                                        ;         Child Loop BB0_64 Depth 4
	v_mov_b64_e32 v[10:11], v[32:33]
	v_mov_b64_e32 v[12:13], v[36:37]
	;; [unrolled: 1-line block ×5, first 2 shown]
	s_and_not1_b32 s42, s42, exec_lo
	s_and_b32 s43, s40, exec_lo
	s_and_not1_b32 s41, s41, exec_lo
	s_or_b32 s42, s42, s43
	s_or_b32 s39, s39, exec_lo
	s_or_b32 s41, s41, s43
	s_or_b32 s38, s38, exec_lo
	s_mov_b32 s43, exec_lo
	v_cmpx_ge_i64_e64 v[28:29], v[18:19]
	s_cbranch_execz .LBB0_30
; %bb.32:                               ;   in Loop: Header=BB0_31 Depth=3
	v_cmp_le_i64_e32 vcc_lo, s[30:31], v[6:7]
	s_mov_b32 s45, -1
	s_mov_b32 s50, 0
	s_mov_b32 s49, 0
                                        ; implicit-def: $sgpr44
                                        ; implicit-def: $sgpr46
                                        ; implicit-def: $sgpr47
                                        ; implicit-def: $vgpr34_vgpr35
                                        ; implicit-def: $vgpr32_vgpr33
                                        ; implicit-def: $vgpr30_vgpr31
                                        ; implicit-def: $vgpr40_vgpr41
	s_or_b32 s48, s34, vcc_lo
	s_delay_alu instid0(SALU_CYCLE_1) | instskip(NEXT) | instid1(SALU_CYCLE_1)
	s_and_saveexec_b32 s51, s48
	s_xor_b32 s48, exec_lo, s51
	s_cbranch_execz .LBB0_48
; %bb.33:                               ;   in Loop: Header=BB0_31 Depth=3
	v_cmp_le_i64_e32 vcc_lo, s[30:31], v[6:7]
	s_mov_b32 s47, 0
	s_mov_b32 s46, 0
                                        ; implicit-def: $vgpr40_vgpr41
	s_or_b32 s50, s33, vcc_lo
	s_delay_alu instid0(SALU_CYCLE_1) | instskip(NEXT) | instid1(SALU_CYCLE_1)
	s_xor_b32 s45, s50, -1
	s_and_saveexec_b32 s44, s45
	s_cbranch_execz .LBB0_35
; %bb.34:                               ;   in Loop: Header=BB0_31 Depth=3
	v_lshl_add_u64 v[30:31], v[6:7], 2, s[0:1]
	s_and_not1_b32 s45, s50, exec_lo
	s_mov_b32 s46, exec_lo
	global_load_b32 v40, v[30:31], off
	s_wait_loadcnt 0x0
	v_ashrrev_i32_e32 v41, 31, v40
	s_delay_alu instid0(VALU_DEP_1) | instskip(SKIP_1) | instid1(SALU_CYCLE_1)
	v_cmp_gt_i64_e32 vcc_lo, v[0:1], v[40:41]
	s_and_b32 s49, vcc_lo, exec_lo
	s_or_b32 s50, s45, s49
.LBB0_35:                               ;   in Loop: Header=BB0_31 Depth=3
	s_wait_xcnt 0x0
	s_or_b32 exec_lo, exec_lo, s44
	s_mov_b32 s49, -1
                                        ; implicit-def: $sgpr44
                                        ; implicit-def: $vgpr34_vgpr35
                                        ; implicit-def: $vgpr32_vgpr33
                                        ; implicit-def: $vgpr30_vgpr31
	s_and_saveexec_b32 s45, s50
	s_cbranch_execz .LBB0_47
; %bb.36:                               ;   in Loop: Header=BB0_31 Depth=3
	v_cmp_gt_i64_e32 vcc_lo, v[28:29], v[10:11]
	v_mov_b64_e32 v[34:35], v[18:19]
	v_mov_b64_e32 v[32:33], v[10:11]
	;; [unrolled: 1-line block ×3, first 2 shown]
	s_mov_b32 s50, 0
	s_and_b32 s44, s33, vcc_lo
	s_delay_alu instid0(SALU_CYCLE_1) | instskip(SKIP_2) | instid1(SALU_CYCLE_1)
	s_nor_b32 s47, s15, s44
	s_mov_b32 s44, s40
	s_and_saveexec_b32 s49, s47
	s_xor_b32 s47, exec_lo, s49
	s_cbranch_execz .LBB0_46
; %bb.37:                               ;   in Loop: Header=BB0_31 Depth=3
	v_mov_b64_e32 v[34:35], v[24:25]
	v_mov_b64_e32 v[32:33], v[4:5]
	;; [unrolled: 1-line block ×3, first 2 shown]
	s_and_not1_b32 vcc_lo, exec_lo, s34
	s_cbranch_vccnz .LBB0_45
; %bb.38:                               ;   in Loop: Header=BB0_31 Depth=3
	v_mov_b64_e32 v[30:31], v[20:21]
	s_mov_b32 s44, exec_lo
	v_cmpx_gt_i64_e64 s[4:5], v[10:11]
	s_cbranch_execz .LBB0_44
; %bb.39:                               ;   in Loop: Header=BB0_31 Depth=3
	v_min_i64 v[32:33], v[18:19], s[4:5]
	v_mov_b64_e32 v[30:31], v[20:21]
	v_dual_mov_b32 v34, v10 :: v_dual_ashrrev_i32 v35, 31, v10
	s_mov_b32 s49, exec_lo
	s_delay_alu instid0(VALU_DEP_1)
	v_cmpx_lt_i64_e64 v[34:35], v[32:33]
	s_cbranch_execz .LBB0_43
; %bb.40:                               ;   in Loop: Header=BB0_31 Depth=3
	v_mov_b64_e32 v[38:39], v[10:11]
	v_mov_b64_e32 v[30:31], v[20:21]
	v_lshl_add_u64 v[36:37], v[20:21], 2, v[16:17]
.LBB0_41:                               ;   Parent Loop BB0_20 Depth=1
                                        ;     Parent Loop BB0_23 Depth=2
                                        ;       Parent Loop BB0_31 Depth=3
                                        ; =>      This Inner Loop Header: Depth=4
	global_store_b32 v[36:37], v38, off
	s_wait_xcnt 0x0
	v_add_nc_u64_e32 v[38:39], s[26:27], v[34:35]
	v_add_nc_u64_e32 v[30:31], 1, v[30:31]
	;; [unrolled: 1-line block ×3, first 2 shown]
	s_delay_alu instid0(VALU_DEP_3) | instskip(NEXT) | instid1(VALU_DEP_1)
	v_dual_mov_b32 v34, v38 :: v_dual_ashrrev_i32 v35, 31, v38
	v_cmp_ge_i64_e32 vcc_lo, v[34:35], v[32:33]
	s_or_b32 s50, vcc_lo, s50
	s_delay_alu instid0(SALU_CYCLE_1)
	s_and_not1_b32 exec_lo, exec_lo, s50
	s_cbranch_execnz .LBB0_41
; %bb.42:                               ;   in Loop: Header=BB0_31 Depth=3
	s_or_b32 exec_lo, exec_lo, s50
.LBB0_43:                               ;   in Loop: Header=BB0_31 Depth=3
	s_delay_alu instid0(SALU_CYCLE_1)
	s_or_b32 exec_lo, exec_lo, s49
.LBB0_44:                               ;   in Loop: Header=BB0_31 Depth=3
	s_delay_alu instid0(SALU_CYCLE_1)
	s_or_b32 exec_lo, exec_lo, s44
	v_mov_b64_e32 v[34:35], s[8:9]
	v_mov_b64_e32 v[32:33], s[4:5]
.LBB0_45:                               ;   in Loop: Header=BB0_31 Depth=3
	s_mov_b32 s50, exec_lo
	s_or_b32 s44, s40, exec_lo
.LBB0_46:                               ;   in Loop: Header=BB0_31 Depth=3
	s_or_b32 exec_lo, exec_lo, s47
	s_delay_alu instid0(SALU_CYCLE_1)
	s_xor_b32 s49, exec_lo, -1
	s_and_b32 s47, s50, exec_lo
	s_and_not1_b32 s46, s46, exec_lo
.LBB0_47:                               ;   in Loop: Header=BB0_31 Depth=3
	s_or_b32 exec_lo, exec_lo, s45
	s_delay_alu instid0(SALU_CYCLE_1)
	s_or_not1_b32 s45, s49, exec_lo
	s_and_b32 s49, s47, exec_lo
	s_and_b32 s50, s46, exec_lo
	s_mov_b32 s46, s44
	s_mov_b32 s47, s44
.LBB0_48:                               ;   in Loop: Header=BB0_31 Depth=3
	s_and_not1_saveexec_b32 s48, s48
	s_cbranch_execz .LBB0_50
; %bb.49:                               ;   in Loop: Header=BB0_31 Depth=3
	v_lshl_add_u64 v[36:37], v[6:7], 2, s[0:1]
	s_or_b32 s50, s50, exec_lo
	global_load_b32 v40, v[36:37], off
	s_wait_loadcnt 0x0
	v_ashrrev_i32_e32 v41, 31, v40
.LBB0_50:                               ;   in Loop: Header=BB0_31 Depth=3
	s_wait_xcnt 0x0
	s_or_b32 exec_lo, exec_lo, s48
	v_mov_b64_e32 v[36:37], v[12:13]
	v_mov_b64_e32 v[38:39], v[6:7]
	s_and_saveexec_b32 s48, s50
	s_cbranch_execz .LBB0_56
; %bb.51:                               ;   in Loop: Header=BB0_31 Depth=3
	s_and_b32 vcc_lo, exec_lo, s34
	s_mov_b32 s50, -1
                                        ; implicit-def: $vgpr36_vgpr37
	s_cbranch_vccz .LBB0_53
; %bb.52:                               ;   in Loop: Header=BB0_31 Depth=3
	v_sub_nc_u64_e32 v[30:31], v[2:3], v[40:41]
	s_mov_b32 s50, 0
	s_delay_alu instid0(VALU_DEP_1)
	v_max_i64 v[36:37], v[30:31], s[24:25]
.LBB0_53:                               ;   in Loop: Header=BB0_31 Depth=3
	s_and_not1_b32 vcc_lo, exec_lo, s50
	s_cbranch_vccnz .LBB0_55
; %bb.54:                               ;   in Loop: Header=BB0_31 Depth=3
	v_add_nc_u64_e32 v[30:31], s[2:3], v[40:41]
	s_delay_alu instid0(VALU_DEP_1) | instskip(NEXT) | instid1(VALU_DEP_1)
	v_sub_nc_u64_e32 v[30:31], v[2:3], v[30:31]
	v_max_i64 v[36:37], v[30:31], s[24:25]
.LBB0_55:                               ;   in Loop: Header=BB0_31 Depth=3
	v_add_nc_u64_e32 v[38:39], 1, v[6:7]
	v_mov_b64_e32 v[34:35], v[18:19]
	v_mov_b64_e32 v[32:33], v[10:11]
	;; [unrolled: 1-line block ×3, first 2 shown]
	s_and_not1_b32 s47, s47, exec_lo
	s_and_b32 s50, s40, exec_lo
	s_and_not1_b32 s46, s46, exec_lo
	s_and_not1_b32 s44, s44, exec_lo
	s_or_b32 s47, s47, s50
	s_or_b32 s46, s46, s50
	;; [unrolled: 1-line block ×3, first 2 shown]
	s_or_b32 s49, s49, exec_lo
.LBB0_56:                               ;   in Loop: Header=BB0_31 Depth=3
	s_or_b32 exec_lo, exec_lo, s48
	s_mov_b32 s50, -1
	s_and_saveexec_b32 s48, s49
	s_cbranch_execz .LBB0_29
; %bb.57:                               ;   in Loop: Header=BB0_31 Depth=3
	s_xor_b32 s49, s44, -1
	s_delay_alu instid0(SALU_CYCLE_1) | instskip(NEXT) | instid1(SALU_CYCLE_1)
	s_and_saveexec_b32 s50, s49
	s_xor_b32 s49, exec_lo, s50
	s_cbranch_execz .LBB0_28
; %bb.58:                               ;   in Loop: Header=BB0_31 Depth=3
	v_add_nc_u64_e32 v[40:41], s[24:25], v[34:35]
	s_mov_b32 s50, exec_lo
	s_delay_alu instid0(VALU_DEP_1)
	v_cmpx_le_i64_e64 v[36:37], v[40:41]
	s_xor_b32 s50, exec_lo, s50
; %bb.59:                               ;   in Loop: Header=BB0_31 Depth=3
	v_cmp_gt_i64_e32 vcc_lo, v[36:37], v[34:35]
	v_dual_cndmask_b32 v35, v35, v41 :: v_dual_cndmask_b32 v34, v34, v40
; %bb.60:                               ;   in Loop: Header=BB0_31 Depth=3
	s_and_not1_saveexec_b32 s50, s50
	s_cbranch_execz .LBB0_27
; %bb.61:                               ;   in Loop: Header=BB0_31 Depth=3
	s_mov_b32 s51, exec_lo
	v_cmpx_gt_i64_e64 s[4:5], v[32:33]
	s_cbranch_execz .LBB0_26
; %bb.62:                               ;   in Loop: Header=BB0_31 Depth=3
	v_min_i64 v[34:35], v[34:35], s[4:5]
	v_ashrrev_i32_e32 v33, 31, v32
	s_mov_b32 s52, exec_lo
	s_delay_alu instid0(VALU_DEP_1)
	v_cmpx_lt_i64_e64 v[32:33], v[34:35]
	s_cbranch_execz .LBB0_25
; %bb.63:                               ;   in Loop: Header=BB0_31 Depth=3
	v_lshl_add_u64 v[40:41], v[30:31], 2, v[16:17]
	s_mov_b32 s53, 0
.LBB0_64:                               ;   Parent Loop BB0_20 Depth=1
                                        ;     Parent Loop BB0_23 Depth=2
                                        ;       Parent Loop BB0_31 Depth=3
                                        ; =>      This Inner Loop Header: Depth=4
	global_store_b32 v[40:41], v32, off
	s_wait_xcnt 0x0
	v_add_nc_u64_e32 v[32:33], s[26:27], v[32:33]
	v_add_nc_u64_e32 v[30:31], 1, v[30:31]
	;; [unrolled: 1-line block ×3, first 2 shown]
	s_delay_alu instid0(VALU_DEP_3) | instskip(NEXT) | instid1(VALU_DEP_1)
	v_ashrrev_i32_e32 v33, 31, v32
	v_cmp_ge_i64_e32 vcc_lo, v[32:33], v[34:35]
	s_or_b32 s53, vcc_lo, s53
	s_delay_alu instid0(SALU_CYCLE_1)
	s_and_not1_b32 exec_lo, exec_lo, s53
	s_cbranch_execnz .LBB0_64
	s_branch .LBB0_24
.LBB0_65:                               ;   in Loop: Header=BB0_23 Depth=2
	s_or_b32 exec_lo, exec_lo, s36
	s_delay_alu instid0(SALU_CYCLE_1)
	s_and_not1_b32 s22, s22, exec_lo
	s_and_b32 s37, s37, exec_lo
	s_mov_b32 s36, -1
	s_or_b32 s22, s22, s37
	s_mov_b32 s37, -1
                                        ; implicit-def: $vgpr40_vgpr41
	s_and_saveexec_b32 s38, s35
	s_delay_alu instid0(SALU_CYCLE_1)
	s_xor_b32 s35, exec_lo, s38
	s_cbranch_execz .LBB0_22
; %bb.66:                               ;   in Loop: Header=BB0_23 Depth=2
	v_mov_b64_e32 v[40:41], v[14:15]
	s_mov_b32 s36, exec_lo
	v_cmpx_lt_i64_e64 v[28:29], v[32:33]
	s_cbranch_execz .LBB0_21
; %bb.67:                               ;   in Loop: Header=BB0_23 Depth=2
	v_add_nc_u64_e32 v[40:41], 1, v[14:15]
	v_lshl_add_u64 v[6:7], v[14:15], 2, v[22:23]
	global_store_b32 v[6:7], v28, off
	s_branch .LBB0_21
.LBB0_68:                               ;   in Loop: Header=BB0_20 Depth=1
	s_or_b32 exec_lo, exec_lo, s20
	s_mov_b32 s20, -1
                                        ; implicit-def: $vgpr30
                                        ; implicit-def: $sgpr14_sgpr15
	s_and_saveexec_b32 s22, s21
	s_delay_alu instid0(SALU_CYCLE_1)
	s_xor_b32 s21, exec_lo, s22
	s_cbranch_execz .LBB0_19
; %bb.69:                               ;   in Loop: Header=BB0_20 Depth=1
	s_lshl_b64 s[14:15], s[10:11], 2
	s_xor_b32 s20, exec_lo, -1
	s_add_nc_u64 s[14:15], s[6:7], s[14:15]
	global_load_b32 v30, v42, s[14:15]
	s_wait_xcnt 0x0
	s_add_nc_u64 s[14:15], s[10:11], 1
	s_branch .LBB0_19
.LBB0_70:
	s_or_b32 exec_lo, exec_lo, s18
	v_cmp_eq_u64_e32 vcc_lo, s[28:29], v[32:33]
	v_cmp_gt_i64_e64 s0, s[4:5], v[28:29]
	s_and_b32 s1, s34, vcc_lo
	s_delay_alu instid0(SALU_CYCLE_1) | instskip(NEXT) | instid1(SALU_CYCLE_1)
	s_and_b32 s1, s1, s0
	s_and_saveexec_b32 s0, s1
	s_cbranch_execz .LBB0_72
; %bb.71:
	v_lshl_add_u64 v[0:1], v[14:15], 2, v[22:23]
	v_add_nc_u64_e32 v[14:15], 1, v[14:15]
	global_store_b32 v[0:1], v28, off
.LBB0_72:
	s_wait_xcnt 0x0
	s_or_b32 exec_lo, exec_lo, s0
	s_delay_alu instid0(SALU_CYCLE_1)
	s_mov_b32 s0, exec_lo
	v_cmpx_gt_i64_e64 s[4:5], v[10:11]
	s_cbranch_execz .LBB0_78
; %bb.73:
	v_min_i64 v[0:1], v[18:19], s[4:5]
	v_ashrrev_i32_e32 v11, 31, v10
	s_mov_b32 s1, exec_lo
	s_delay_alu instid0(VALU_DEP_1)
	v_cmpx_lt_i64_e64 v[10:11], v[0:1]
	s_cbranch_execz .LBB0_77
; %bb.74:
	v_lshl_add_u64 v[2:3], v[20:21], 2, v[16:17]
	s_mov_b32 s2, 0
.LBB0_75:                               ; =>This Inner Loop Header: Depth=1
	global_store_b32 v[2:3], v10, off
	s_wait_xcnt 0x0
	v_add_nc_u64_e32 v[10:11], s[26:27], v[10:11]
	v_add_nc_u64_e32 v[20:21], 1, v[20:21]
	v_add_nc_u64_e32 v[2:3], 4, v[2:3]
	s_delay_alu instid0(VALU_DEP_3) | instskip(NEXT) | instid1(VALU_DEP_1)
	v_ashrrev_i32_e32 v11, 31, v10
	v_cmp_ge_i64_e32 vcc_lo, v[10:11], v[0:1]
	s_or_b32 s2, vcc_lo, s2
	s_delay_alu instid0(SALU_CYCLE_1)
	s_and_not1_b32 exec_lo, exec_lo, s2
	s_cbranch_execnz .LBB0_75
; %bb.76:
	s_or_b32 exec_lo, exec_lo, s2
.LBB0_77:
	s_delay_alu instid0(SALU_CYCLE_1)
	s_or_b32 exec_lo, exec_lo, s1
.LBB0_78:
	s_delay_alu instid0(SALU_CYCLE_1) | instskip(SKIP_1) | instid1(VALU_DEP_1)
	s_or_b32 exec_lo, exec_lo, s0
	v_lshlrev_b64_e32 v[0:1], 2, v[8:9]
	v_add_nc_u64_e32 v[2:3], s[12:13], v[0:1]
	v_add_nc_u64_e32 v[0:1], s[16:17], v[0:1]
	global_store_b32 v[2:3], v20, off
	global_store_b32 v[0:1], v14, off
.LBB0_79:
	s_endpgm
	.section	.rodata,"a",@progbits
	.p2align	6, 0x0
	.amdhsa_kernel _Z37convert_vertical_slash_indexes_kernelPKiS0_S0_S0_PiS1_S1_S1_llllllb
		.amdhsa_group_segment_fixed_size 0
		.amdhsa_private_segment_fixed_size 0
		.amdhsa_kernarg_size 376
		.amdhsa_user_sgpr_count 2
		.amdhsa_user_sgpr_dispatch_ptr 0
		.amdhsa_user_sgpr_queue_ptr 0
		.amdhsa_user_sgpr_kernarg_segment_ptr 1
		.amdhsa_user_sgpr_dispatch_id 0
		.amdhsa_user_sgpr_kernarg_preload_length 0
		.amdhsa_user_sgpr_kernarg_preload_offset 0
		.amdhsa_user_sgpr_private_segment_size 0
		.amdhsa_wavefront_size32 1
		.amdhsa_uses_dynamic_stack 0
		.amdhsa_enable_private_segment 0
		.amdhsa_system_sgpr_workgroup_id_x 1
		.amdhsa_system_sgpr_workgroup_id_y 1
		.amdhsa_system_sgpr_workgroup_id_z 1
		.amdhsa_system_sgpr_workgroup_info 0
		.amdhsa_system_vgpr_workitem_id 0
		.amdhsa_next_free_vgpr 43
		.amdhsa_next_free_sgpr 54
		.amdhsa_named_barrier_count 0
		.amdhsa_reserve_vcc 1
		.amdhsa_float_round_mode_32 0
		.amdhsa_float_round_mode_16_64 0
		.amdhsa_float_denorm_mode_32 3
		.amdhsa_float_denorm_mode_16_64 3
		.amdhsa_fp16_overflow 0
		.amdhsa_memory_ordered 1
		.amdhsa_forward_progress 1
		.amdhsa_inst_pref_size 21
		.amdhsa_round_robin_scheduling 0
		.amdhsa_exception_fp_ieee_invalid_op 0
		.amdhsa_exception_fp_denorm_src 0
		.amdhsa_exception_fp_ieee_div_zero 0
		.amdhsa_exception_fp_ieee_overflow 0
		.amdhsa_exception_fp_ieee_underflow 0
		.amdhsa_exception_fp_ieee_inexact 0
		.amdhsa_exception_int_div_zero 0
	.end_amdhsa_kernel
	.text
.Lfunc_end0:
	.size	_Z37convert_vertical_slash_indexes_kernelPKiS0_S0_S0_PiS1_S1_S1_llllllb, .Lfunc_end0-_Z37convert_vertical_slash_indexes_kernelPKiS0_S0_S0_PiS1_S1_S1_llllllb
                                        ; -- End function
	.set _Z37convert_vertical_slash_indexes_kernelPKiS0_S0_S0_PiS1_S1_S1_llllllb.num_vgpr, 43
	.set _Z37convert_vertical_slash_indexes_kernelPKiS0_S0_S0_PiS1_S1_S1_llllllb.num_agpr, 0
	.set _Z37convert_vertical_slash_indexes_kernelPKiS0_S0_S0_PiS1_S1_S1_llllllb.numbered_sgpr, 54
	.set _Z37convert_vertical_slash_indexes_kernelPKiS0_S0_S0_PiS1_S1_S1_llllllb.num_named_barrier, 0
	.set _Z37convert_vertical_slash_indexes_kernelPKiS0_S0_S0_PiS1_S1_S1_llllllb.private_seg_size, 0
	.set _Z37convert_vertical_slash_indexes_kernelPKiS0_S0_S0_PiS1_S1_S1_llllllb.uses_vcc, 1
	.set _Z37convert_vertical_slash_indexes_kernelPKiS0_S0_S0_PiS1_S1_S1_llllllb.uses_flat_scratch, 0
	.set _Z37convert_vertical_slash_indexes_kernelPKiS0_S0_S0_PiS1_S1_S1_llllllb.has_dyn_sized_stack, 0
	.set _Z37convert_vertical_slash_indexes_kernelPKiS0_S0_S0_PiS1_S1_S1_llllllb.has_recursion, 0
	.set _Z37convert_vertical_slash_indexes_kernelPKiS0_S0_S0_PiS1_S1_S1_llllllb.has_indirect_call, 0
	.section	.AMDGPU.csdata,"",@progbits
; Kernel info:
; codeLenInByte = 2576
; TotalNumSgprs: 56
; NumVgprs: 43
; ScratchSize: 0
; MemoryBound: 0
; FloatMode: 240
; IeeeMode: 1
; LDSByteSize: 0 bytes/workgroup (compile time only)
; SGPRBlocks: 0
; VGPRBlocks: 2
; NumSGPRsForWavesPerEU: 56
; NumVGPRsForWavesPerEU: 43
; NamedBarCnt: 0
; Occupancy: 16
; WaveLimiterHint : 0
; COMPUTE_PGM_RSRC2:SCRATCH_EN: 0
; COMPUTE_PGM_RSRC2:USER_SGPR: 2
; COMPUTE_PGM_RSRC2:TRAP_HANDLER: 0
; COMPUTE_PGM_RSRC2:TGID_X_EN: 1
; COMPUTE_PGM_RSRC2:TGID_Y_EN: 1
; COMPUTE_PGM_RSRC2:TGID_Z_EN: 1
; COMPUTE_PGM_RSRC2:TIDIG_COMP_CNT: 0
	.text
	.protected	_Z47convert_vertical_slash_indexes_kernel_mergeheadPKiS0_S0_S0_S0_S0_PiS1_S1_S1_llllllb ; -- Begin function _Z47convert_vertical_slash_indexes_kernel_mergeheadPKiS0_S0_S0_S0_S0_PiS1_S1_S1_llllllb
	.globl	_Z47convert_vertical_slash_indexes_kernel_mergeheadPKiS0_S0_S0_S0_S0_PiS1_S1_S1_llllllb
	.p2align	8
	.type	_Z47convert_vertical_slash_indexes_kernel_mergeheadPKiS0_S0_S0_S0_S0_PiS1_S1_S1_llllllb,@function
_Z47convert_vertical_slash_indexes_kernel_mergeheadPKiS0_S0_S0_S0_S0_PiS1_S1_S1_llllllb: ; @_Z47convert_vertical_slash_indexes_kernel_mergeheadPKiS0_S0_S0_S0_S0_PiS1_S1_S1_llllllb
; %bb.0:
	s_load_b32 s2, s[0:1], 0x94
	s_bfe_u32 s3, ttmp6, 0x40014
	s_lshr_b32 s20, ttmp7, 16
	s_add_co_i32 s3, s3, 1
	s_bfe_u32 s22, ttmp6, 0x40010
	s_load_b512 s[4:19], s[0:1], 0x40
	s_mul_i32 s3, s20, s3
	s_bfe_u32 s21, ttmp6, 0x40008
	s_and_b32 s23, ttmp7, 0xffff
	s_add_co_i32 s22, s22, 1
	s_add_co_i32 s21, s21, s3
	s_mul_i32 s3, s23, s22
	s_bfe_u32 s22, ttmp6, 0x40004
	s_getreg_b32 s24, hwreg(HW_REG_IB_STS2, 6, 4)
	s_add_co_i32 s22, s22, s3
	s_cmp_eq_u32 s24, 0
	s_load_b512 s[36:51], s[0:1], 0x0
	s_cselect_b32 s22, s23, s22
	s_cselect_b32 s3, s20, s21
	v_mov_b32_e32 v9, 0
	s_wait_kmcnt 0x0
	s_and_b32 s2, s2, 0xffff
	s_mov_b32 s23, 0
	v_mad_u32 v8, s3, s2, v0
	s_mov_b32 s20, exec_lo
	s_delay_alu instid0(VALU_DEP_1)
	v_mul_u64_e32 v[0:1], s[12:13], v[8:9]
	s_load_b32 s2, s[36:37], s22 offset:0x0 scale_offset
	s_wait_kmcnt 0x0
	s_ashr_i32 s3, s2, 31
	s_delay_alu instid0(VALU_DEP_1) | instid1(SALU_CYCLE_1)
	v_cmpx_gt_i64_e64 s[2:3], v[0:1]
	s_cbranch_execz .LBB1_79
; %bb.1:
	s_load_b32 s21, s[0:1], 0x80
	s_load_b32 s20, s[38:39], s22 offset:0x0 scale_offset
	s_mul_u64 s[8:9], s[8:9], s[22:23]
	v_add_nc_u64_e32 v[14:15], s[12:13], v[0:1]
	s_wait_kmcnt 0x0
	s_bitcmp1_b32 s21, 0
	s_cselect_b32 s33, -1, 0
	s_bfe_u32 s0, ttmp6, 0x4000c
	s_and_b32 s1, ttmp6, 15
	s_add_co_i32 s0, s0, 1
	s_ashr_i32 s21, s20, 31
	s_mul_i32 s0, ttmp9, s0
	v_add_nc_u64_e32 v[2:3], s[20:21], v[14:15]
	s_add_co_i32 s1, s1, s0
	s_cmp_eq_u32 s24, 0
	s_cselect_b32 s0, ttmp9, s1
	s_and_b32 vcc_lo, exec_lo, s33
	s_ashr_i32 s1, s0, 31
	s_delay_alu instid0(SALU_CYCLE_1)
	s_add_nc_u64 s[28:29], s[8:9], s[0:1]
	s_lshl_b64 s[22:23], s[0:1], 2
	s_mul_u64 s[8:9], s[18:19], s[28:29]
	s_mul_u64 s[0:1], s[16:17], s[28:29]
	s_lshl_b64 s[8:9], s[8:9], 2
	s_add_nc_u64 s[24:25], s[46:47], s[22:23]
	s_lshl_b64 s[30:31], s[0:1], 2
	s_add_nc_u64 s[0:1], s[42:43], s[8:9]
	s_load_b32 s8, s[24:25], 0x0
	s_load_b32 s26, s[0:1], 0x0
	s_add_nc_u64 s[34:35], s[44:45], s[22:23]
	s_wait_xcnt 0x0
	s_add_nc_u64 s[24:25], s[40:41], s[30:31]
	s_load_b32 s22, s[34:35], 0x0
	s_load_b32 s36, s[24:25], 0x0
	s_wait_xcnt 0x0
	s_mov_b32 s34, -1
	s_wait_kmcnt 0x0
	s_ashr_i32 s9, s8, 31
	s_ashr_i32 s27, s26, 31
	s_cbranch_vccnz .LBB1_7
; %bb.2:
	v_cmp_ge_i64_e32 vcc_lo, s[26:27], v[2:3]
	v_mov_b64_e32 v[6:7], 1
	v_mov_b64_e32 v[4:5], s[26:27]
	s_cmp_gt_i32 s8, 1
	s_cselect_b32 s23, -1, 0
	s_delay_alu instid0(SALU_CYCLE_1) | instskip(NEXT) | instid1(SALU_CYCLE_1)
	s_and_b32 s30, vcc_lo, s23
	s_and_saveexec_b32 s23, s30
	s_cbranch_execz .LBB1_6
; %bb.3:
	s_add_nc_u64 s[30:31], s[0:1], 4
	s_mov_b64 s[34:35], 1
	s_mov_b32 s37, 0
.LBB1_4:                                ; =>This Inner Loop Header: Depth=1
	s_load_b32 s38, s[30:31], 0x0
	s_add_nc_u64 s[34:35], s[34:35], 1
	s_wait_xcnt 0x0
	s_add_nc_u64 s[30:31], s[30:31], 4
	v_cmp_ge_i64_e64 s40, s[34:35], s[8:9]
	v_mov_b64_e32 v[6:7], s[34:35]
	s_wait_kmcnt 0x0
	s_ashr_i32 s39, s38, 31
	s_delay_alu instid0(SALU_CYCLE_1) | instskip(SKIP_2) | instid1(SALU_CYCLE_1)
	v_cmp_lt_i64_e32 vcc_lo, s[38:39], v[2:3]
	v_mov_b64_e32 v[4:5], s[38:39]
	s_or_b32 s40, vcc_lo, s40
	s_and_b32 s38, exec_lo, s40
	s_delay_alu instid0(SALU_CYCLE_1) | instskip(NEXT) | instid1(SALU_CYCLE_1)
	s_or_b32 s37, s38, s37
	s_and_not1_b32 exec_lo, exec_lo, s37
	s_cbranch_execnz .LBB1_4
; %bb.5:
	s_or_b32 exec_lo, exec_lo, s37
.LBB1_6:
	s_delay_alu instid0(SALU_CYCLE_1) | instskip(SKIP_3) | instid1(SALU_CYCLE_1)
	s_or_b32 exec_lo, exec_lo, s23
	v_cmp_ge_i64_e64 s23, v[2:3], v[4:5]
	v_sub_nc_u64_e32 v[10:11], v[2:3], v[4:5]
	s_sub_nc_u64 s[30:31], s[20:21], s[2:3]
	v_add_nc_u64_e32 v[4:5], s[30:31], v[14:15]
	s_branch .LBB1_13
.LBB1_7:
                                        ; implicit-def: $sgpr23
                                        ; implicit-def: $vgpr6_vgpr7
                                        ; implicit-def: $vgpr10_vgpr11
	s_sub_nc_u64 s[30:31], s[20:21], s[2:3]
	s_and_b32 vcc_lo, exec_lo, s34
	v_add_nc_u64_e32 v[4:5], s[30:31], v[14:15]
	s_cbranch_vccz .LBB1_13
; %bb.8:
	v_add_nc_u64_e32 v[10:11], s[30:31], v[14:15]
	v_mov_b64_e32 v[6:7], 1
	v_mov_b64_e32 v[12:13], s[26:27]
	s_cmp_gt_i32 s8, 1
	s_cselect_b32 s23, -1, 0
	s_delay_alu instid0(VALU_DEP_3) | instskip(SKIP_1) | instid1(SALU_CYCLE_1)
	v_cmp_ge_i64_e32 vcc_lo, s[26:27], v[10:11]
	s_and_b32 s26, vcc_lo, s23
	s_and_saveexec_b32 s23, s26
	s_cbranch_execz .LBB1_12
; %bb.9:
	s_add_nc_u64 s[26:27], s[0:1], 4
	s_mov_b64 s[34:35], 1
	s_mov_b32 s37, 0
.LBB1_10:                               ; =>This Inner Loop Header: Depth=1
	s_load_b32 s38, s[26:27], 0x0
	s_add_nc_u64 s[34:35], s[34:35], 1
	s_wait_xcnt 0x0
	s_add_nc_u64 s[26:27], s[26:27], 4
	v_cmp_ge_i64_e64 s40, s[34:35], s[8:9]
	v_mov_b64_e32 v[6:7], s[34:35]
	s_wait_kmcnt 0x0
	s_ashr_i32 s39, s38, 31
	s_delay_alu instid0(SALU_CYCLE_1) | instskip(SKIP_2) | instid1(SALU_CYCLE_1)
	v_cmp_lt_i64_e32 vcc_lo, s[38:39], v[10:11]
	v_mov_b64_e32 v[12:13], s[38:39]
	s_or_b32 s40, vcc_lo, s40
	s_and_b32 s38, exec_lo, s40
	s_delay_alu instid0(SALU_CYCLE_1) | instskip(NEXT) | instid1(SALU_CYCLE_1)
	s_or_b32 s37, s38, s37
	s_and_not1_b32 exec_lo, exec_lo, s37
	s_cbranch_execnz .LBB1_10
; %bb.11:
	s_or_b32 exec_lo, exec_lo, s37
.LBB1_12:
	s_delay_alu instid0(SALU_CYCLE_1)
	s_or_b32 exec_lo, exec_lo, s23
	v_cmp_ge_i64_e64 s23, v[10:11], v[12:13]
	v_sub_nc_u64_e32 v[10:11], v[10:11], v[12:13]
.LBB1_13:
	s_delay_alu instid0(VALU_DEP_1) | instskip(SKIP_2) | instid1(VALU_DEP_3)
	v_max_i64 v[12:13], v[10:11], s[12:13]
	s_xor_b32 s34, s33, -1
	s_mov_b32 s35, -1
	s_xor_b32 s37, s23, -1
	s_add_nc_u64 s[26:27], s[14:15], s[20:21]
	s_delay_alu instid0(VALU_DEP_1)
	v_sub_nc_u64_e64 v[10:11], v[12:13], s[12:13]
	v_mov_b64_e32 v[16:17], v[12:13]
	s_and_saveexec_b32 s23, s37
	s_cbranch_execz .LBB1_18
; %bb.14:
	s_and_b32 vcc_lo, exec_lo, s34
	s_cbranch_vccz .LBB1_16
; %bb.15:
	s_mov_b32 s35, 0
.LBB1_16:
	v_mov_b64_e32 v[16:17], s[26:27]
	v_mov_b64_e32 v[10:11], s[20:21]
	s_and_not1_b32 vcc_lo, exec_lo, s35
	s_cbranch_vccnz .LBB1_18
; %bb.17:
	v_add_nc_u64_e32 v[10:11], s[30:31], v[14:15]
	s_delay_alu instid0(VALU_DEP_1)
	v_add_nc_u64_e32 v[16:17], s[14:15], v[10:11]
.LBB1_18:
	s_or_b32 exec_lo, exec_lo, s23
	v_mad_nc_u64_u32 v[8:9], s28, s10, v[8:9]
	s_mul_i32 s10, s29, s10
	s_mul_i32 s11, s28, s11
	s_ashr_i32 s23, s22, 31
	v_add_nc_u64_e32 v[24:25], s[14:15], v[4:5]
	v_mov_b64_e32 v[40:41], 0
	v_mov_b64_e32 v[20:21], 0
	v_dual_mov_b32 v30, s36 :: v_dual_mov_b32 v42, 0
	v_add3_u32 v9, s11, s10, v9
	s_and_b32 s10, exec_lo, s33
	s_cselect_b32 s11, s3, 0
	s_cselect_b32 s10, s2, 0
	s_delay_alu instid0(SALU_CYCLE_1) | instskip(SKIP_4) | instid1(VALU_DEP_3)
	v_sub_nc_u64_e64 v[14:15], v[14:15], s[10:11]
	v_mul_u64_e32 v[18:19], s[16:17], v[8:9]
	v_mul_u64_e32 v[28:29], s[18:19], v[8:9]
	s_mov_b32 s17, 0
	s_mov_b32 s16, 0
	v_add_nc_u64_e32 v[26:27], s[26:27], v[14:15]
	s_delay_alu instid0(VALU_DEP_3) | instskip(NEXT) | instid1(VALU_DEP_3)
	v_lshl_add_u64 v[22:23], v[18:19], 2, s[6:7]
	v_lshl_add_u64 v[18:19], v[28:29], 2, s[50:51]
	s_mov_b64 s[6:7], 1
	s_branch .LBB1_20
.LBB1_19:                               ;   in Loop: Header=BB1_20 Depth=1
	s_or_b32 exec_lo, exec_lo, s19
	v_mov_b64_e32 v[32:33], s[6:7]
	s_and_b32 s18, exec_lo, s18
	s_mov_b64 s[6:7], s[10:11]
	s_or_b32 s16, s18, s16
	s_delay_alu instid0(SALU_CYCLE_1)
	s_and_not1_b32 exec_lo, exec_lo, s16
	s_cbranch_execz .LBB1_70
.LBB1_20:                               ; =>This Loop Header: Depth=1
                                        ;     Child Loop BB1_23 Depth 2
                                        ;       Child Loop BB1_31 Depth 3
                                        ;         Child Loop BB1_41 Depth 4
                                        ;         Child Loop BB1_64 Depth 4
	v_cmp_lt_i64_e64 s10, s[6:7], s[22:23]
	s_wait_loadcnt 0x0
	v_ashrrev_i32_e32 v31, 31, v30
	s_cmp_eq_u64 s[6:7], s[22:23]
	s_mov_b32 s18, 0
	s_cselect_b32 s11, -1, 0
	s_mov_b32 s28, s17
                                        ; implicit-def: $sgpr19
	s_branch .LBB1_23
.LBB1_21:                               ;   in Loop: Header=BB1_23 Depth=2
	s_wait_xcnt 0x0
	s_or_b32 exec_lo, exec_lo, s31
	s_delay_alu instid0(SALU_CYCLE_1)
	s_and_not1_b32 s28, s28, exec_lo
	s_and_b32 s29, s29, exec_lo
	v_mov_b64_e32 v[20:21], v[30:31]
	v_mov_b64_e32 v[6:7], v[38:39]
	;; [unrolled: 1-line block ×5, first 2 shown]
	s_xor_b32 s35, exec_lo, -1
	s_or_b32 s28, s28, s29
	s_or_not1_b32 s31, s10, exec_lo
.LBB1_22:                               ;   in Loop: Header=BB1_23 Depth=2
	s_or_b32 exec_lo, exec_lo, s30
	s_xor_b32 s29, s35, -1
	s_and_b32 s30, exec_lo, s31
	v_mov_b64_e32 v[30:31], v[26:27]
	s_or_b32 s18, s30, s18
	s_and_not1_b32 s17, s17, exec_lo
	s_and_b32 s30, s28, exec_lo
	s_and_not1_b32 s19, s19, exec_lo
	s_and_b32 s29, s29, exec_lo
	s_or_b32 s17, s17, s30
	s_or_b32 s19, s19, s29
	s_and_not1_b32 exec_lo, exec_lo, s18
	s_cbranch_execz .LBB1_68
.LBB1_23:                               ;   Parent Loop BB1_20 Depth=1
                                        ; =>  This Loop Header: Depth=2
                                        ;       Child Loop BB1_31 Depth 3
                                        ;         Child Loop BB1_41 Depth 4
                                        ;         Child Loop BB1_64 Depth 4
	v_mov_b64_e32 v[28:29], v[30:31]
	v_mov_b64_e32 v[14:15], v[40:41]
	;; [unrolled: 1-line block ×7, first 2 shown]
	s_and_not1_b32 s29, s0, exec_lo
	s_and_b32 s30, s28, exec_lo
	s_mov_b32 s31, 0
	s_or_b32 s38, s29, s30
                                        ; implicit-def: $sgpr35
                                        ; implicit-def: $sgpr29
                                        ; implicit-def: $sgpr30
                                        ; implicit-def: $sgpr36
                                        ; implicit-def: $sgpr39
                                        ; implicit-def: $sgpr37
                                        ; implicit-def: $sgpr40
	s_branch .LBB1_31
.LBB1_24:                               ;   in Loop: Header=BB1_31 Depth=3
	s_or_b32 exec_lo, exec_lo, s53
.LBB1_25:                               ;   in Loop: Header=BB1_31 Depth=3
	s_delay_alu instid0(SALU_CYCLE_1)
	s_or_b32 exec_lo, exec_lo, s52
.LBB1_26:                               ;   in Loop: Header=BB1_31 Depth=3
	s_delay_alu instid0(SALU_CYCLE_1)
	s_or_b32 exec_lo, exec_lo, s51
	v_sub_nc_u64_e64 v[32:33], v[36:37], s[12:13]
	v_mov_b64_e32 v[34:35], v[36:37]
.LBB1_27:                               ;   in Loop: Header=BB1_31 Depth=3
	s_or_b32 exec_lo, exec_lo, s50
.LBB1_28:                               ;   in Loop: Header=BB1_31 Depth=3
	s_delay_alu instid0(SALU_CYCLE_1) | instskip(NEXT) | instid1(SALU_CYCLE_1)
	s_or_b32 exec_lo, exec_lo, s47
	s_and_not1_b32 s45, s45, exec_lo
	s_and_b32 s42, s42, exec_lo
	s_and_not1_b32 s44, s44, exec_lo
	s_or_b32 s45, s45, s42
	s_or_b32 s44, s44, s42
	s_xor_b32 s50, exec_lo, -1
.LBB1_29:                               ;   in Loop: Header=BB1_31 Depth=3
	s_or_b32 exec_lo, exec_lo, s46
	s_delay_alu instid0(SALU_CYCLE_1)
	s_and_not1_b32 s40, s40, exec_lo
	s_and_b32 s42, s45, exec_lo
	s_and_not1_b32 s37, s37, exec_lo
	s_and_b32 s43, s43, exec_lo
	s_or_b32 s40, s40, s42
	s_or_b32 s37, s37, s43
	s_and_not1_b32 s39, s39, exec_lo
	s_and_b32 s42, s44, exec_lo
	s_and_not1_b32 s36, s36, exec_lo
	s_and_b32 s43, s50, exec_lo
	s_or_b32 s39, s39, s42
	s_or_b32 s36, s36, s43
.LBB1_30:                               ;   in Loop: Header=BB1_31 Depth=3
	s_or_b32 exec_lo, exec_lo, s41
	s_delay_alu instid0(SALU_CYCLE_1) | instskip(NEXT) | instid1(SALU_CYCLE_1)
	s_and_b32 s41, exec_lo, s36
	s_or_b32 s31, s41, s31
	s_and_not1_b32 s41, s38, exec_lo
	s_and_b32 s42, s40, exec_lo
	s_and_not1_b32 s30, s30, exec_lo
	s_and_b32 s43, s37, exec_lo
	s_or_b32 s41, s41, s42
	s_and_not1_b32 s29, s29, exec_lo
	s_and_b32 s42, s39, exec_lo
	s_and_not1_b32 s35, s35, exec_lo
	s_and_b32 s38, s38, exec_lo
	s_or_b32 s30, s30, s43
	s_or_b32 s29, s29, s42
	;; [unrolled: 1-line block ×3, first 2 shown]
	s_mov_b32 s38, s41
	s_and_not1_b32 exec_lo, exec_lo, s31
	s_cbranch_execz .LBB1_65
.LBB1_31:                               ;   Parent Loop BB1_20 Depth=1
                                        ;     Parent Loop BB1_23 Depth=2
                                        ; =>    This Loop Header: Depth=3
                                        ;         Child Loop BB1_41 Depth 4
                                        ;         Child Loop BB1_64 Depth 4
	v_mov_b64_e32 v[10:11], v[32:33]
	v_mov_b64_e32 v[12:13], v[36:37]
	;; [unrolled: 1-line block ×5, first 2 shown]
	s_and_not1_b32 s40, s40, exec_lo
	s_and_b32 s41, s38, exec_lo
	s_and_not1_b32 s39, s39, exec_lo
	s_or_b32 s40, s40, s41
	s_or_b32 s37, s37, exec_lo
	s_or_b32 s39, s39, s41
	s_or_b32 s36, s36, exec_lo
	s_mov_b32 s41, exec_lo
	v_cmpx_ge_i64_e64 v[28:29], v[16:17]
	s_cbranch_execz .LBB1_30
; %bb.32:                               ;   in Loop: Header=BB1_31 Depth=3
	v_cmp_le_i64_e32 vcc_lo, s[8:9], v[6:7]
	s_mov_b32 s43, -1
	s_mov_b32 s50, 0
	s_mov_b32 s47, 0
                                        ; implicit-def: $sgpr42
                                        ; implicit-def: $sgpr44
                                        ; implicit-def: $sgpr45
                                        ; implicit-def: $vgpr34_vgpr35
                                        ; implicit-def: $vgpr32_vgpr33
                                        ; implicit-def: $vgpr30_vgpr31
                                        ; implicit-def: $vgpr40_vgpr41
	s_or_b32 s46, s34, vcc_lo
	s_delay_alu instid0(SALU_CYCLE_1) | instskip(NEXT) | instid1(SALU_CYCLE_1)
	s_and_saveexec_b32 s51, s46
	s_xor_b32 s46, exec_lo, s51
	s_cbranch_execz .LBB1_48
; %bb.33:                               ;   in Loop: Header=BB1_31 Depth=3
	v_cmp_le_i64_e32 vcc_lo, s[8:9], v[6:7]
	s_mov_b32 s45, 0
	s_mov_b32 s44, 0
                                        ; implicit-def: $vgpr40_vgpr41
	s_or_b32 s50, s33, vcc_lo
	s_delay_alu instid0(SALU_CYCLE_1) | instskip(NEXT) | instid1(SALU_CYCLE_1)
	s_xor_b32 s43, s50, -1
	s_and_saveexec_b32 s42, s43
	s_cbranch_execz .LBB1_35
; %bb.34:                               ;   in Loop: Header=BB1_31 Depth=3
	v_lshl_add_u64 v[30:31], v[6:7], 2, s[0:1]
	s_and_not1_b32 s43, s50, exec_lo
	s_mov_b32 s44, exec_lo
	global_load_b32 v40, v[30:31], off
	s_wait_loadcnt 0x0
	v_ashrrev_i32_e32 v41, 31, v40
	s_delay_alu instid0(VALU_DEP_1) | instskip(SKIP_1) | instid1(SALU_CYCLE_1)
	v_cmp_gt_i64_e32 vcc_lo, v[0:1], v[40:41]
	s_and_b32 s47, vcc_lo, exec_lo
	s_or_b32 s50, s43, s47
.LBB1_35:                               ;   in Loop: Header=BB1_31 Depth=3
	s_wait_xcnt 0x0
	s_or_b32 exec_lo, exec_lo, s42
	s_mov_b32 s47, -1
                                        ; implicit-def: $sgpr42
                                        ; implicit-def: $vgpr34_vgpr35
                                        ; implicit-def: $vgpr32_vgpr33
                                        ; implicit-def: $vgpr30_vgpr31
	s_and_saveexec_b32 s43, s50
	s_cbranch_execz .LBB1_47
; %bb.36:                               ;   in Loop: Header=BB1_31 Depth=3
	v_cmp_gt_i64_e32 vcc_lo, v[28:29], v[10:11]
	v_mov_b64_e32 v[34:35], v[16:17]
	v_mov_b64_e32 v[32:33], v[10:11]
	;; [unrolled: 1-line block ×3, first 2 shown]
	s_mov_b32 s50, 0
	s_and_b32 s42, s33, vcc_lo
	s_delay_alu instid0(SALU_CYCLE_1) | instskip(SKIP_2) | instid1(SALU_CYCLE_1)
	s_nor_b32 s45, s11, s42
	s_mov_b32 s42, s38
	s_and_saveexec_b32 s47, s45
	s_xor_b32 s45, exec_lo, s47
	s_cbranch_execz .LBB1_46
; %bb.37:                               ;   in Loop: Header=BB1_31 Depth=3
	v_mov_b64_e32 v[34:35], v[24:25]
	v_mov_b64_e32 v[32:33], v[4:5]
	;; [unrolled: 1-line block ×3, first 2 shown]
	s_and_not1_b32 vcc_lo, exec_lo, s34
	s_cbranch_vccnz .LBB1_45
; %bb.38:                               ;   in Loop: Header=BB1_31 Depth=3
	v_mov_b64_e32 v[30:31], v[20:21]
	s_mov_b32 s42, exec_lo
	v_cmpx_gt_i64_e64 s[20:21], v[10:11]
	s_cbranch_execz .LBB1_44
; %bb.39:                               ;   in Loop: Header=BB1_31 Depth=3
	v_min_i64 v[32:33], v[16:17], s[20:21]
	v_mov_b64_e32 v[30:31], v[20:21]
	v_dual_mov_b32 v34, v10 :: v_dual_ashrrev_i32 v35, 31, v10
	s_mov_b32 s47, exec_lo
	s_delay_alu instid0(VALU_DEP_1)
	v_cmpx_lt_i64_e64 v[34:35], v[32:33]
	s_cbranch_execz .LBB1_43
; %bb.40:                               ;   in Loop: Header=BB1_31 Depth=3
	v_mov_b64_e32 v[38:39], v[10:11]
	v_mov_b64_e32 v[30:31], v[20:21]
	v_lshl_add_u64 v[36:37], v[20:21], 2, v[18:19]
.LBB1_41:                               ;   Parent Loop BB1_20 Depth=1
                                        ;     Parent Loop BB1_23 Depth=2
                                        ;       Parent Loop BB1_31 Depth=3
                                        ; =>      This Inner Loop Header: Depth=4
	global_store_b32 v[36:37], v38, off
	s_wait_xcnt 0x0
	v_add_nc_u64_e32 v[38:39], s[14:15], v[34:35]
	v_add_nc_u64_e32 v[30:31], 1, v[30:31]
	;; [unrolled: 1-line block ×3, first 2 shown]
	s_delay_alu instid0(VALU_DEP_3) | instskip(NEXT) | instid1(VALU_DEP_1)
	v_dual_mov_b32 v34, v38 :: v_dual_ashrrev_i32 v35, 31, v38
	v_cmp_ge_i64_e32 vcc_lo, v[34:35], v[32:33]
	s_or_b32 s50, vcc_lo, s50
	s_delay_alu instid0(SALU_CYCLE_1)
	s_and_not1_b32 exec_lo, exec_lo, s50
	s_cbranch_execnz .LBB1_41
; %bb.42:                               ;   in Loop: Header=BB1_31 Depth=3
	s_or_b32 exec_lo, exec_lo, s50
.LBB1_43:                               ;   in Loop: Header=BB1_31 Depth=3
	s_delay_alu instid0(SALU_CYCLE_1)
	s_or_b32 exec_lo, exec_lo, s47
.LBB1_44:                               ;   in Loop: Header=BB1_31 Depth=3
	s_delay_alu instid0(SALU_CYCLE_1)
	s_or_b32 exec_lo, exec_lo, s42
	v_mov_b64_e32 v[34:35], s[26:27]
	v_mov_b64_e32 v[32:33], s[20:21]
.LBB1_45:                               ;   in Loop: Header=BB1_31 Depth=3
	s_mov_b32 s50, exec_lo
	s_or_b32 s42, s38, exec_lo
.LBB1_46:                               ;   in Loop: Header=BB1_31 Depth=3
	s_or_b32 exec_lo, exec_lo, s45
	s_delay_alu instid0(SALU_CYCLE_1)
	s_xor_b32 s47, exec_lo, -1
	s_and_b32 s45, s50, exec_lo
	s_and_not1_b32 s44, s44, exec_lo
.LBB1_47:                               ;   in Loop: Header=BB1_31 Depth=3
	s_or_b32 exec_lo, exec_lo, s43
	s_delay_alu instid0(SALU_CYCLE_1)
	s_or_not1_b32 s43, s47, exec_lo
	s_and_b32 s47, s45, exec_lo
	s_and_b32 s50, s44, exec_lo
	s_mov_b32 s44, s42
	s_mov_b32 s45, s42
.LBB1_48:                               ;   in Loop: Header=BB1_31 Depth=3
	s_and_not1_saveexec_b32 s46, s46
	s_cbranch_execz .LBB1_50
; %bb.49:                               ;   in Loop: Header=BB1_31 Depth=3
	v_lshl_add_u64 v[36:37], v[6:7], 2, s[0:1]
	s_or_b32 s50, s50, exec_lo
	global_load_b32 v40, v[36:37], off
	s_wait_loadcnt 0x0
	v_ashrrev_i32_e32 v41, 31, v40
.LBB1_50:                               ;   in Loop: Header=BB1_31 Depth=3
	s_wait_xcnt 0x0
	s_or_b32 exec_lo, exec_lo, s46
	v_mov_b64_e32 v[36:37], v[12:13]
	v_mov_b64_e32 v[38:39], v[6:7]
	s_and_saveexec_b32 s46, s50
	s_cbranch_execz .LBB1_56
; %bb.51:                               ;   in Loop: Header=BB1_31 Depth=3
	s_and_b32 vcc_lo, exec_lo, s34
	s_mov_b32 s50, -1
                                        ; implicit-def: $vgpr36_vgpr37
	s_cbranch_vccz .LBB1_53
; %bb.52:                               ;   in Loop: Header=BB1_31 Depth=3
	v_sub_nc_u64_e32 v[30:31], v[2:3], v[40:41]
	s_mov_b32 s50, 0
	s_delay_alu instid0(VALU_DEP_1)
	v_max_i64 v[36:37], v[30:31], s[12:13]
.LBB1_53:                               ;   in Loop: Header=BB1_31 Depth=3
	s_and_not1_b32 vcc_lo, exec_lo, s50
	s_cbranch_vccnz .LBB1_55
; %bb.54:                               ;   in Loop: Header=BB1_31 Depth=3
	v_add_nc_u64_e32 v[30:31], s[2:3], v[40:41]
	s_delay_alu instid0(VALU_DEP_1) | instskip(NEXT) | instid1(VALU_DEP_1)
	v_sub_nc_u64_e32 v[30:31], v[2:3], v[30:31]
	v_max_i64 v[36:37], v[30:31], s[12:13]
.LBB1_55:                               ;   in Loop: Header=BB1_31 Depth=3
	v_add_nc_u64_e32 v[38:39], 1, v[6:7]
	v_mov_b64_e32 v[34:35], v[16:17]
	v_mov_b64_e32 v[32:33], v[10:11]
	;; [unrolled: 1-line block ×3, first 2 shown]
	s_and_not1_b32 s45, s45, exec_lo
	s_and_b32 s50, s38, exec_lo
	s_and_not1_b32 s44, s44, exec_lo
	s_and_not1_b32 s42, s42, exec_lo
	s_or_b32 s45, s45, s50
	s_or_b32 s44, s44, s50
	s_or_b32 s42, s42, s50
	s_or_b32 s47, s47, exec_lo
.LBB1_56:                               ;   in Loop: Header=BB1_31 Depth=3
	s_or_b32 exec_lo, exec_lo, s46
	s_mov_b32 s50, -1
	s_and_saveexec_b32 s46, s47
	s_cbranch_execz .LBB1_29
; %bb.57:                               ;   in Loop: Header=BB1_31 Depth=3
	s_xor_b32 s47, s42, -1
	s_delay_alu instid0(SALU_CYCLE_1) | instskip(NEXT) | instid1(SALU_CYCLE_1)
	s_and_saveexec_b32 s50, s47
	s_xor_b32 s47, exec_lo, s50
	s_cbranch_execz .LBB1_28
; %bb.58:                               ;   in Loop: Header=BB1_31 Depth=3
	v_add_nc_u64_e32 v[40:41], s[12:13], v[34:35]
	s_mov_b32 s50, exec_lo
	s_delay_alu instid0(VALU_DEP_1)
	v_cmpx_le_i64_e64 v[36:37], v[40:41]
	s_xor_b32 s50, exec_lo, s50
; %bb.59:                               ;   in Loop: Header=BB1_31 Depth=3
	v_cmp_gt_i64_e32 vcc_lo, v[36:37], v[34:35]
	v_dual_cndmask_b32 v35, v35, v41 :: v_dual_cndmask_b32 v34, v34, v40
; %bb.60:                               ;   in Loop: Header=BB1_31 Depth=3
	s_and_not1_saveexec_b32 s50, s50
	s_cbranch_execz .LBB1_27
; %bb.61:                               ;   in Loop: Header=BB1_31 Depth=3
	s_mov_b32 s51, exec_lo
	v_cmpx_gt_i64_e64 s[20:21], v[32:33]
	s_cbranch_execz .LBB1_26
; %bb.62:                               ;   in Loop: Header=BB1_31 Depth=3
	v_min_i64 v[34:35], v[34:35], s[20:21]
	v_ashrrev_i32_e32 v33, 31, v32
	s_mov_b32 s52, exec_lo
	s_delay_alu instid0(VALU_DEP_1)
	v_cmpx_lt_i64_e64 v[32:33], v[34:35]
	s_cbranch_execz .LBB1_25
; %bb.63:                               ;   in Loop: Header=BB1_31 Depth=3
	v_lshl_add_u64 v[40:41], v[30:31], 2, v[18:19]
	s_mov_b32 s53, 0
.LBB1_64:                               ;   Parent Loop BB1_20 Depth=1
                                        ;     Parent Loop BB1_23 Depth=2
                                        ;       Parent Loop BB1_31 Depth=3
                                        ; =>      This Inner Loop Header: Depth=4
	global_store_b32 v[40:41], v32, off
	s_wait_xcnt 0x0
	v_add_nc_u64_e32 v[32:33], s[14:15], v[32:33]
	v_add_nc_u64_e32 v[30:31], 1, v[30:31]
	v_add_nc_u64_e32 v[40:41], 4, v[40:41]
	s_delay_alu instid0(VALU_DEP_3) | instskip(NEXT) | instid1(VALU_DEP_1)
	v_ashrrev_i32_e32 v33, 31, v32
	v_cmp_ge_i64_e32 vcc_lo, v[32:33], v[34:35]
	s_or_b32 s53, vcc_lo, s53
	s_delay_alu instid0(SALU_CYCLE_1)
	s_and_not1_b32 exec_lo, exec_lo, s53
	s_cbranch_execnz .LBB1_64
	s_branch .LBB1_24
.LBB1_65:                               ;   in Loop: Header=BB1_23 Depth=2
	s_or_b32 exec_lo, exec_lo, s31
	s_delay_alu instid0(SALU_CYCLE_1)
	s_and_not1_b32 s28, s28, exec_lo
	s_and_b32 s35, s35, exec_lo
	s_mov_b32 s31, -1
	s_or_b32 s28, s28, s35
	s_mov_b32 s35, -1
                                        ; implicit-def: $vgpr40_vgpr41
	s_and_saveexec_b32 s36, s30
	s_delay_alu instid0(SALU_CYCLE_1)
	s_xor_b32 s30, exec_lo, s36
	s_cbranch_execz .LBB1_22
; %bb.66:                               ;   in Loop: Header=BB1_23 Depth=2
	v_mov_b64_e32 v[40:41], v[14:15]
	s_mov_b32 s31, exec_lo
	v_cmpx_lt_i64_e64 v[28:29], v[32:33]
	s_cbranch_execz .LBB1_21
; %bb.67:                               ;   in Loop: Header=BB1_23 Depth=2
	v_add_nc_u64_e32 v[40:41], 1, v[14:15]
	v_lshl_add_u64 v[6:7], v[14:15], 2, v[22:23]
	global_store_b32 v[6:7], v28, off
	s_branch .LBB1_21
.LBB1_68:                               ;   in Loop: Header=BB1_20 Depth=1
	s_or_b32 exec_lo, exec_lo, s18
	s_mov_b32 s18, -1
                                        ; implicit-def: $vgpr30
                                        ; implicit-def: $sgpr10_sgpr11
	s_and_saveexec_b32 s28, s19
	s_delay_alu instid0(SALU_CYCLE_1)
	s_xor_b32 s19, exec_lo, s28
	s_cbranch_execz .LBB1_19
; %bb.69:                               ;   in Loop: Header=BB1_20 Depth=1
	s_lshl_b64 s[10:11], s[6:7], 2
	s_xor_b32 s18, exec_lo, -1
	s_add_nc_u64 s[10:11], s[24:25], s[10:11]
	global_load_b32 v30, v42, s[10:11]
	s_wait_xcnt 0x0
	s_add_nc_u64 s[10:11], s[6:7], 1
	s_branch .LBB1_19
.LBB1_70:
	s_or_b32 exec_lo, exec_lo, s16
	v_cmp_eq_u64_e32 vcc_lo, s[22:23], v[32:33]
	v_cmp_gt_i64_e64 s0, s[20:21], v[28:29]
	s_and_b32 s1, s34, vcc_lo
	s_delay_alu instid0(SALU_CYCLE_1) | instskip(NEXT) | instid1(SALU_CYCLE_1)
	s_and_b32 s1, s1, s0
	s_and_saveexec_b32 s0, s1
	s_cbranch_execz .LBB1_72
; %bb.71:
	v_lshl_add_u64 v[0:1], v[14:15], 2, v[22:23]
	v_add_nc_u64_e32 v[14:15], 1, v[14:15]
	global_store_b32 v[0:1], v28, off
.LBB1_72:
	s_wait_xcnt 0x0
	s_or_b32 exec_lo, exec_lo, s0
	s_delay_alu instid0(SALU_CYCLE_1)
	s_mov_b32 s0, exec_lo
	v_cmpx_gt_i64_e64 s[20:21], v[10:11]
	s_cbranch_execz .LBB1_78
; %bb.73:
	v_min_i64 v[0:1], v[16:17], s[20:21]
	v_ashrrev_i32_e32 v11, 31, v10
	s_mov_b32 s1, exec_lo
	s_delay_alu instid0(VALU_DEP_1)
	v_cmpx_lt_i64_e64 v[10:11], v[0:1]
	s_cbranch_execz .LBB1_77
; %bb.74:
	v_lshl_add_u64 v[2:3], v[20:21], 2, v[18:19]
	s_mov_b32 s2, 0
.LBB1_75:                               ; =>This Inner Loop Header: Depth=1
	global_store_b32 v[2:3], v10, off
	s_wait_xcnt 0x0
	v_add_nc_u64_e32 v[10:11], s[14:15], v[10:11]
	v_add_nc_u64_e32 v[20:21], 1, v[20:21]
	;; [unrolled: 1-line block ×3, first 2 shown]
	s_delay_alu instid0(VALU_DEP_3) | instskip(NEXT) | instid1(VALU_DEP_1)
	v_ashrrev_i32_e32 v11, 31, v10
	v_cmp_ge_i64_e32 vcc_lo, v[10:11], v[0:1]
	s_or_b32 s2, vcc_lo, s2
	s_delay_alu instid0(SALU_CYCLE_1)
	s_and_not1_b32 exec_lo, exec_lo, s2
	s_cbranch_execnz .LBB1_75
; %bb.76:
	s_or_b32 exec_lo, exec_lo, s2
.LBB1_77:
	s_delay_alu instid0(SALU_CYCLE_1)
	s_or_b32 exec_lo, exec_lo, s1
.LBB1_78:
	s_delay_alu instid0(SALU_CYCLE_1) | instskip(SKIP_1) | instid1(VALU_DEP_1)
	s_or_b32 exec_lo, exec_lo, s0
	v_lshlrev_b64_e32 v[0:1], 2, v[8:9]
	v_add_nc_u64_e32 v[2:3], s[48:49], v[0:1]
	v_add_nc_u64_e32 v[0:1], s[4:5], v[0:1]
	global_store_b32 v[2:3], v20, off
	global_store_b32 v[0:1], v14, off
.LBB1_79:
	s_endpgm
	.section	.rodata,"a",@progbits
	.p2align	6, 0x0
	.amdhsa_kernel _Z47convert_vertical_slash_indexes_kernel_mergeheadPKiS0_S0_S0_S0_S0_PiS1_S1_S1_llllllb
		.amdhsa_group_segment_fixed_size 0
		.amdhsa_private_segment_fixed_size 0
		.amdhsa_kernarg_size 392
		.amdhsa_user_sgpr_count 2
		.amdhsa_user_sgpr_dispatch_ptr 0
		.amdhsa_user_sgpr_queue_ptr 0
		.amdhsa_user_sgpr_kernarg_segment_ptr 1
		.amdhsa_user_sgpr_dispatch_id 0
		.amdhsa_user_sgpr_kernarg_preload_length 0
		.amdhsa_user_sgpr_kernarg_preload_offset 0
		.amdhsa_user_sgpr_private_segment_size 0
		.amdhsa_wavefront_size32 1
		.amdhsa_uses_dynamic_stack 0
		.amdhsa_enable_private_segment 0
		.amdhsa_system_sgpr_workgroup_id_x 1
		.amdhsa_system_sgpr_workgroup_id_y 1
		.amdhsa_system_sgpr_workgroup_id_z 1
		.amdhsa_system_sgpr_workgroup_info 0
		.amdhsa_system_vgpr_workitem_id 0
		.amdhsa_next_free_vgpr 43
		.amdhsa_next_free_sgpr 54
		.amdhsa_named_barrier_count 0
		.amdhsa_reserve_vcc 1
		.amdhsa_float_round_mode_32 0
		.amdhsa_float_round_mode_16_64 0
		.amdhsa_float_denorm_mode_32 3
		.amdhsa_float_denorm_mode_16_64 3
		.amdhsa_fp16_overflow 0
		.amdhsa_memory_ordered 1
		.amdhsa_forward_progress 1
		.amdhsa_inst_pref_size 21
		.amdhsa_round_robin_scheduling 0
		.amdhsa_exception_fp_ieee_invalid_op 0
		.amdhsa_exception_fp_denorm_src 0
		.amdhsa_exception_fp_ieee_div_zero 0
		.amdhsa_exception_fp_ieee_overflow 0
		.amdhsa_exception_fp_ieee_underflow 0
		.amdhsa_exception_fp_ieee_inexact 0
		.amdhsa_exception_int_div_zero 0
	.end_amdhsa_kernel
	.text
.Lfunc_end1:
	.size	_Z47convert_vertical_slash_indexes_kernel_mergeheadPKiS0_S0_S0_S0_S0_PiS1_S1_S1_llllllb, .Lfunc_end1-_Z47convert_vertical_slash_indexes_kernel_mergeheadPKiS0_S0_S0_S0_S0_PiS1_S1_S1_llllllb
                                        ; -- End function
	.set _Z47convert_vertical_slash_indexes_kernel_mergeheadPKiS0_S0_S0_S0_S0_PiS1_S1_S1_llllllb.num_vgpr, 43
	.set _Z47convert_vertical_slash_indexes_kernel_mergeheadPKiS0_S0_S0_S0_S0_PiS1_S1_S1_llllllb.num_agpr, 0
	.set _Z47convert_vertical_slash_indexes_kernel_mergeheadPKiS0_S0_S0_S0_S0_PiS1_S1_S1_llllllb.numbered_sgpr, 54
	.set _Z47convert_vertical_slash_indexes_kernel_mergeheadPKiS0_S0_S0_S0_S0_PiS1_S1_S1_llllllb.num_named_barrier, 0
	.set _Z47convert_vertical_slash_indexes_kernel_mergeheadPKiS0_S0_S0_S0_S0_PiS1_S1_S1_llllllb.private_seg_size, 0
	.set _Z47convert_vertical_slash_indexes_kernel_mergeheadPKiS0_S0_S0_S0_S0_PiS1_S1_S1_llllllb.uses_vcc, 1
	.set _Z47convert_vertical_slash_indexes_kernel_mergeheadPKiS0_S0_S0_S0_S0_PiS1_S1_S1_llllllb.uses_flat_scratch, 0
	.set _Z47convert_vertical_slash_indexes_kernel_mergeheadPKiS0_S0_S0_S0_S0_PiS1_S1_S1_llllllb.has_dyn_sized_stack, 0
	.set _Z47convert_vertical_slash_indexes_kernel_mergeheadPKiS0_S0_S0_S0_S0_PiS1_S1_S1_llllllb.has_recursion, 0
	.set _Z47convert_vertical_slash_indexes_kernel_mergeheadPKiS0_S0_S0_S0_S0_PiS1_S1_S1_llllllb.has_indirect_call, 0
	.section	.AMDGPU.csdata,"",@progbits
; Kernel info:
; codeLenInByte = 2600
; TotalNumSgprs: 56
; NumVgprs: 43
; ScratchSize: 0
; MemoryBound: 0
; FloatMode: 240
; IeeeMode: 1
; LDSByteSize: 0 bytes/workgroup (compile time only)
; SGPRBlocks: 0
; VGPRBlocks: 2
; NumSGPRsForWavesPerEU: 56
; NumVGPRsForWavesPerEU: 43
; NamedBarCnt: 0
; Occupancy: 16
; WaveLimiterHint : 0
; COMPUTE_PGM_RSRC2:SCRATCH_EN: 0
; COMPUTE_PGM_RSRC2:USER_SGPR: 2
; COMPUTE_PGM_RSRC2:TRAP_HANDLER: 0
; COMPUTE_PGM_RSRC2:TGID_X_EN: 1
; COMPUTE_PGM_RSRC2:TGID_Y_EN: 1
; COMPUTE_PGM_RSRC2:TGID_Z_EN: 1
; COMPUTE_PGM_RSRC2:TIDIG_COMP_CNT: 0
	.text
	.p2alignl 7, 3214868480
	.fill 96, 4, 3214868480
	.section	.AMDGPU.gpr_maximums,"",@progbits
	.set amdgpu.max_num_vgpr, 0
	.set amdgpu.max_num_agpr, 0
	.set amdgpu.max_num_sgpr, 0
	.text
	.type	__hip_cuid_203bccea4858488e,@object ; @__hip_cuid_203bccea4858488e
	.section	.bss,"aw",@nobits
	.globl	__hip_cuid_203bccea4858488e
__hip_cuid_203bccea4858488e:
	.byte	0                               ; 0x0
	.size	__hip_cuid_203bccea4858488e, 1

	.ident	"AMD clang version 22.0.0git (https://github.com/RadeonOpenCompute/llvm-project roc-7.2.4 26084 f58b06dce1f9c15707c5f808fd002e18c2accf7e)"
	.section	".note.GNU-stack","",@progbits
	.addrsig
	.addrsig_sym __hip_cuid_203bccea4858488e
	.amdgpu_metadata
---
amdhsa.kernels:
  - .args:
      - .address_space:  global
        .offset:         0
        .size:           8
        .value_kind:     global_buffer
      - .address_space:  global
        .offset:         8
        .size:           8
        .value_kind:     global_buffer
      - .address_space:  global
        .offset:         16
        .size:           8
        .value_kind:     global_buffer
      - .address_space:  global
        .offset:         24
        .size:           8
        .value_kind:     global_buffer
      - .address_space:  global
        .offset:         32
        .size:           8
        .value_kind:     global_buffer
      - .address_space:  global
        .offset:         40
        .size:           8
        .value_kind:     global_buffer
      - .address_space:  global
        .offset:         48
        .size:           8
        .value_kind:     global_buffer
      - .address_space:  global
        .offset:         56
        .size:           8
        .value_kind:     global_buffer
      - .offset:         64
        .size:           8
        .value_kind:     by_value
      - .offset:         72
        .size:           8
        .value_kind:     by_value
      - .offset:         80
        .size:           8
        .value_kind:     by_value
      - .offset:         88
        .size:           8
        .value_kind:     by_value
      - .offset:         96
        .size:           8
        .value_kind:     by_value
      - .offset:         104
        .size:           8
        .value_kind:     by_value
      - .offset:         112
        .size:           1
        .value_kind:     by_value
      - .offset:         120
        .size:           4
        .value_kind:     hidden_block_count_x
      - .offset:         124
        .size:           4
        .value_kind:     hidden_block_count_y
      - .offset:         128
        .size:           4
        .value_kind:     hidden_block_count_z
      - .offset:         132
        .size:           2
        .value_kind:     hidden_group_size_x
      - .offset:         134
        .size:           2
        .value_kind:     hidden_group_size_y
      - .offset:         136
        .size:           2
        .value_kind:     hidden_group_size_z
      - .offset:         138
        .size:           2
        .value_kind:     hidden_remainder_x
      - .offset:         140
        .size:           2
        .value_kind:     hidden_remainder_y
      - .offset:         142
        .size:           2
        .value_kind:     hidden_remainder_z
      - .offset:         160
        .size:           8
        .value_kind:     hidden_global_offset_x
      - .offset:         168
        .size:           8
        .value_kind:     hidden_global_offset_y
      - .offset:         176
        .size:           8
        .value_kind:     hidden_global_offset_z
      - .offset:         184
        .size:           2
        .value_kind:     hidden_grid_dims
    .group_segment_fixed_size: 0
    .kernarg_segment_align: 8
    .kernarg_segment_size: 376
    .language:       OpenCL C
    .language_version:
      - 2
      - 0
    .max_flat_workgroup_size: 1024
    .name:           _Z37convert_vertical_slash_indexes_kernelPKiS0_S0_S0_PiS1_S1_S1_llllllb
    .private_segment_fixed_size: 0
    .sgpr_count:     56
    .sgpr_spill_count: 0
    .symbol:         _Z37convert_vertical_slash_indexes_kernelPKiS0_S0_S0_PiS1_S1_S1_llllllb.kd
    .uniform_work_group_size: 1
    .uses_dynamic_stack: false
    .vgpr_count:     43
    .vgpr_spill_count: 0
    .wavefront_size: 32
  - .args:
      - .address_space:  global
        .offset:         0
        .size:           8
        .value_kind:     global_buffer
      - .address_space:  global
        .offset:         8
        .size:           8
        .value_kind:     global_buffer
      - .address_space:  global
        .offset:         16
        .size:           8
        .value_kind:     global_buffer
      - .address_space:  global
        .offset:         24
        .size:           8
        .value_kind:     global_buffer
      - .address_space:  global
        .offset:         32
        .size:           8
        .value_kind:     global_buffer
      - .address_space:  global
        .offset:         40
        .size:           8
        .value_kind:     global_buffer
      - .address_space:  global
        .offset:         48
        .size:           8
        .value_kind:     global_buffer
      - .address_space:  global
        .offset:         56
        .size:           8
        .value_kind:     global_buffer
      - .address_space:  global
        .offset:         64
        .size:           8
        .value_kind:     global_buffer
      - .address_space:  global
        .offset:         72
        .size:           8
        .value_kind:     global_buffer
      - .offset:         80
        .size:           8
        .value_kind:     by_value
      - .offset:         88
        .size:           8
        .value_kind:     by_value
      - .offset:         96
        .size:           8
        .value_kind:     by_value
      - .offset:         104
        .size:           8
        .value_kind:     by_value
      - .offset:         112
        .size:           8
        .value_kind:     by_value
      - .offset:         120
        .size:           8
        .value_kind:     by_value
      - .offset:         128
        .size:           1
        .value_kind:     by_value
      - .offset:         136
        .size:           4
        .value_kind:     hidden_block_count_x
      - .offset:         140
        .size:           4
        .value_kind:     hidden_block_count_y
      - .offset:         144
        .size:           4
        .value_kind:     hidden_block_count_z
      - .offset:         148
        .size:           2
        .value_kind:     hidden_group_size_x
      - .offset:         150
        .size:           2
        .value_kind:     hidden_group_size_y
      - .offset:         152
        .size:           2
        .value_kind:     hidden_group_size_z
      - .offset:         154
        .size:           2
        .value_kind:     hidden_remainder_x
      - .offset:         156
        .size:           2
        .value_kind:     hidden_remainder_y
      - .offset:         158
        .size:           2
        .value_kind:     hidden_remainder_z
      - .offset:         176
        .size:           8
        .value_kind:     hidden_global_offset_x
      - .offset:         184
        .size:           8
        .value_kind:     hidden_global_offset_y
      - .offset:         192
        .size:           8
        .value_kind:     hidden_global_offset_z
      - .offset:         200
        .size:           2
        .value_kind:     hidden_grid_dims
    .group_segment_fixed_size: 0
    .kernarg_segment_align: 8
    .kernarg_segment_size: 392
    .language:       OpenCL C
    .language_version:
      - 2
      - 0
    .max_flat_workgroup_size: 1024
    .name:           _Z47convert_vertical_slash_indexes_kernel_mergeheadPKiS0_S0_S0_S0_S0_PiS1_S1_S1_llllllb
    .private_segment_fixed_size: 0
    .sgpr_count:     56
    .sgpr_spill_count: 0
    .symbol:         _Z47convert_vertical_slash_indexes_kernel_mergeheadPKiS0_S0_S0_S0_S0_PiS1_S1_S1_llllllb.kd
    .uniform_work_group_size: 1
    .uses_dynamic_stack: false
    .vgpr_count:     43
    .vgpr_spill_count: 0
    .wavefront_size: 32
amdhsa.target:   amdgcn-amd-amdhsa--gfx1250
amdhsa.version:
  - 1
  - 2
...

	.end_amdgpu_metadata
